;; amdgpu-corpus repo=tuanlda78202/gpt-oss-amd kind=compiled arch=gfx1250 opt=O3
	.amdgcn_target "amdgcn-amd-amdhsa--gfx1250"
	.amdhsa_code_object_version 6
	.text
	.protected	_Z23count_tokens_per_expertPKiPKfiiPiS3_PfS3_i ; -- Begin function _Z23count_tokens_per_expertPKiPKfiiPiS3_PfS3_i
	.globl	_Z23count_tokens_per_expertPKiPKfiiPiS3_PfS3_i
	.p2align	8
	.type	_Z23count_tokens_per_expertPKiPKfiiPiS3_PfS3_i,@function
_Z23count_tokens_per_expertPKiPKfiiPiS3_PfS3_i: ; @_Z23count_tokens_per_expertPKiPKfiiPiS3_PfS3_i
; %bb.0:
	s_clause 0x1
	s_load_b32 s4, s[0:1], 0x4c
	s_load_b64 s[2:3], s[0:1], 0x10
	s_bfe_u32 s5, ttmp6, 0x4000c
	s_and_b32 s6, ttmp6, 15
	s_add_co_i32 s5, s5, 1
	s_getreg_b32 s7, hwreg(HW_REG_IB_STS2, 6, 4)
	s_mul_i32 s5, ttmp9, s5
	s_delay_alu instid0(SALU_CYCLE_1)
	s_add_co_i32 s6, s6, s5
	s_wait_kmcnt 0x0
	s_and_b32 s4, s4, 0xffff
	s_cmp_eq_u32 s7, 0
	s_mul_i32 s2, s3, s2
	s_cselect_b32 s5, ttmp9, s6
	s_delay_alu instid0(SALU_CYCLE_1) | instskip(NEXT) | instid1(VALU_DEP_1)
	v_mad_u32 v0, s5, s4, v0
	v_cmp_gt_i32_e32 vcc_lo, s2, v0
	s_and_saveexec_b32 s2, vcc_lo
	s_cbranch_execz .LBB0_3
; %bb.1:
	s_clause 0x1
	s_load_b128 s[8:11], s[0:1], 0x0
	s_load_b128 s[4:7], s[0:1], 0x18
	s_wait_kmcnt 0x0
	s_clause 0x1
	global_load_b32 v1, v0, s[8:9] scale_offset
	global_load_b32 v2, v0, s[10:11] scale_offset
	s_wait_xcnt 0x1
	s_abs_i32 s8, s3
	s_delay_alu instid0(SALU_CYCLE_1) | instskip(SKIP_1) | instid1(SALU_CYCLE_2)
	s_cvt_f32_u32 s2, s8
	s_sub_co_i32 s9, 0, s8
	v_rcp_iflag_f32_e32 v3, s2
	v_nop
	s_delay_alu instid0(TRANS32_DEP_1) | instskip(SKIP_2) | instid1(VALU_DEP_1)
	v_readfirstlane_b32 s2, v3
	v_sub_nc_u32_e32 v3, 0, v0
	s_mul_f32 s2, s2, 0x4f7ffffe
	v_max_i32_e32 v3, v0, v3
	s_delay_alu instid0(SALU_CYCLE_2) | instskip(NEXT) | instid1(SALU_CYCLE_3)
	s_cvt_u32_f32 s2, s2
	s_mul_i32 s9, s9, s2
	s_delay_alu instid0(SALU_CYCLE_1) | instskip(NEXT) | instid1(SALU_CYCLE_1)
	s_mul_hi_u32 s9, s2, s9
	s_add_co_i32 s2, s2, s9
	s_load_b32 s9, s[0:1], 0x38
	v_mul_hi_u32 v4, v3, s2
	s_delay_alu instid0(VALU_DEP_1) | instskip(NEXT) | instid1(VALU_DEP_1)
	v_mul_lo_u32 v5, v4, s8
	v_dual_sub_nc_u32 v3, v3, v5 :: v_dual_add_nc_u32 v5, 1, v4
	s_delay_alu instid0(VALU_DEP_1) | instskip(NEXT) | instid1(VALU_DEP_2)
	v_cmp_le_u32_e32 vcc_lo, s8, v3
	v_dual_cndmask_b32 v4, v4, v5, vcc_lo :: v_dual_bitop2_b32 v5, s3, v0 bitop3:0x14
	v_subrev_nc_u32_e32 v6, s8, v3
	s_load_b64 s[2:3], s[0:1], 0x28
	s_delay_alu instid0(VALU_DEP_1) | instskip(NEXT) | instid1(VALU_DEP_1)
	v_dual_cndmask_b32 v3, v3, v6 :: v_dual_add_nc_u32 v6, 1, v4
	v_cmp_le_u32_e32 vcc_lo, s8, v3
	s_delay_alu instid0(VALU_DEP_2) | instskip(NEXT) | instid1(VALU_DEP_1)
	v_dual_ashrrev_i32 v5, 31, v5 :: v_dual_cndmask_b32 v3, v4, v6, vcc_lo
	v_xor_b32_e32 v3, v3, v5
	s_delay_alu instid0(VALU_DEP_1)
	v_sub_nc_u32_e32 v3, v3, v5
	s_wait_loadcnt 0x1
	s_clause 0x1
	global_store_b32 v0, v1, s[4:5] scale_offset
	global_store_b32 v0, v3, s[6:7] scale_offset
	s_wait_loadcnt 0x0
	s_wait_kmcnt 0x0
	global_store_b32 v0, v2, s[2:3] scale_offset
	v_cmp_gt_u32_e32 vcc_lo, s9, v1
	s_wait_xcnt 0x0
	s_and_b32 exec_lo, exec_lo, vcc_lo
	s_cbranch_execz .LBB0_3
; %bb.2:
	s_load_b64 s[0:1], s[0:1], 0x30
	v_mov_b32_e32 v0, 1
	s_wait_xcnt 0x0
	s_wait_kmcnt 0x0
	global_atomic_add_u32 v1, v0, s[0:1] scale_offset scope:SCOPE_DEV
.LBB0_3:
	s_endpgm
	.section	.rodata,"a",@progbits
	.p2align	6, 0x0
	.amdhsa_kernel _Z23count_tokens_per_expertPKiPKfiiPiS3_PfS3_i
		.amdhsa_group_segment_fixed_size 0
		.amdhsa_private_segment_fixed_size 0
		.amdhsa_kernarg_size 320
		.amdhsa_user_sgpr_count 2
		.amdhsa_user_sgpr_dispatch_ptr 0
		.amdhsa_user_sgpr_queue_ptr 0
		.amdhsa_user_sgpr_kernarg_segment_ptr 1
		.amdhsa_user_sgpr_dispatch_id 0
		.amdhsa_user_sgpr_kernarg_preload_length 0
		.amdhsa_user_sgpr_kernarg_preload_offset 0
		.amdhsa_user_sgpr_private_segment_size 0
		.amdhsa_wavefront_size32 1
		.amdhsa_uses_dynamic_stack 0
		.amdhsa_enable_private_segment 0
		.amdhsa_system_sgpr_workgroup_id_x 1
		.amdhsa_system_sgpr_workgroup_id_y 0
		.amdhsa_system_sgpr_workgroup_id_z 0
		.amdhsa_system_sgpr_workgroup_info 0
		.amdhsa_system_vgpr_workitem_id 0
		.amdhsa_next_free_vgpr 7
		.amdhsa_next_free_sgpr 12
		.amdhsa_named_barrier_count 0
		.amdhsa_reserve_vcc 1
		.amdhsa_float_round_mode_32 0
		.amdhsa_float_round_mode_16_64 0
		.amdhsa_float_denorm_mode_32 3
		.amdhsa_float_denorm_mode_16_64 3
		.amdhsa_fp16_overflow 0
		.amdhsa_memory_ordered 1
		.amdhsa_forward_progress 1
		.amdhsa_inst_pref_size 4
		.amdhsa_round_robin_scheduling 0
		.amdhsa_exception_fp_ieee_invalid_op 0
		.amdhsa_exception_fp_denorm_src 0
		.amdhsa_exception_fp_ieee_div_zero 0
		.amdhsa_exception_fp_ieee_overflow 0
		.amdhsa_exception_fp_ieee_underflow 0
		.amdhsa_exception_fp_ieee_inexact 0
		.amdhsa_exception_int_div_zero 0
	.end_amdhsa_kernel
	.text
.Lfunc_end0:
	.size	_Z23count_tokens_per_expertPKiPKfiiPiS3_PfS3_i, .Lfunc_end0-_Z23count_tokens_per_expertPKiPKfiiPiS3_PfS3_i
                                        ; -- End function
	.set _Z23count_tokens_per_expertPKiPKfiiPiS3_PfS3_i.num_vgpr, 7
	.set _Z23count_tokens_per_expertPKiPKfiiPiS3_PfS3_i.num_agpr, 0
	.set _Z23count_tokens_per_expertPKiPKfiiPiS3_PfS3_i.numbered_sgpr, 12
	.set _Z23count_tokens_per_expertPKiPKfiiPiS3_PfS3_i.num_named_barrier, 0
	.set _Z23count_tokens_per_expertPKiPKfiiPiS3_PfS3_i.private_seg_size, 0
	.set _Z23count_tokens_per_expertPKiPKfiiPiS3_PfS3_i.uses_vcc, 1
	.set _Z23count_tokens_per_expertPKiPKfiiPiS3_PfS3_i.uses_flat_scratch, 0
	.set _Z23count_tokens_per_expertPKiPKfiiPiS3_PfS3_i.has_dyn_sized_stack, 0
	.set _Z23count_tokens_per_expertPKiPKfiiPiS3_PfS3_i.has_recursion, 0
	.set _Z23count_tokens_per_expertPKiPKfiiPiS3_PfS3_i.has_indirect_call, 0
	.section	.AMDGPU.csdata,"",@progbits
; Kernel info:
; codeLenInByte = 448
; TotalNumSgprs: 14
; NumVgprs: 7
; ScratchSize: 0
; MemoryBound: 0
; FloatMode: 240
; IeeeMode: 1
; LDSByteSize: 0 bytes/workgroup (compile time only)
; SGPRBlocks: 0
; VGPRBlocks: 0
; NumSGPRsForWavesPerEU: 14
; NumVGPRsForWavesPerEU: 7
; NamedBarCnt: 0
; Occupancy: 16
; WaveLimiterHint : 1
; COMPUTE_PGM_RSRC2:SCRATCH_EN: 0
; COMPUTE_PGM_RSRC2:USER_SGPR: 2
; COMPUTE_PGM_RSRC2:TRAP_HANDLER: 0
; COMPUTE_PGM_RSRC2:TGID_X_EN: 1
; COMPUTE_PGM_RSRC2:TGID_Y_EN: 0
; COMPUTE_PGM_RSRC2:TGID_Z_EN: 0
; COMPUTE_PGM_RSRC2:TIDIG_COMP_CNT: 0
	.text
	.protected	_Z29exclusive_scan_expert_offsetsPiS_i ; -- Begin function _Z29exclusive_scan_expert_offsetsPiS_i
	.globl	_Z29exclusive_scan_expert_offsetsPiS_i
	.p2align	8
	.type	_Z29exclusive_scan_expert_offsetsPiS_i,@function
_Z29exclusive_scan_expert_offsetsPiS_i: ; @_Z29exclusive_scan_expert_offsetsPiS_i
; %bb.0:
	s_mov_b32 s2, exec_lo
	v_cmpx_eq_u32_e32 0, v0
	s_cbranch_execz .LBB1_8
; %bb.1:
	s_load_b96 s[4:6], s[0:1], 0x8
	v_mov_b32_e32 v3, 0
	s_wait_kmcnt 0x0
	s_cmp_lt_i32 s6, 1
	global_store_b32 v3, v3, s[4:5]
	s_cbranch_scc1 .LBB1_8
; %bb.2:
	s_load_b64 s[8:9], s[0:1], 0x0
	s_cmp_lt_u32 s6, 8
	s_mov_b32 s2, 0
	s_cbranch_scc1 .LBB1_5
; %bb.3:
	s_wait_xcnt 0x0
	s_mov_b32 s0, 0
	v_dual_mov_b32 v8, 0 :: v_dual_mov_b32 v3, 0
	s_mov_b32 s2, s0
	s_mov_b32 s3, s0
	;; [unrolled: 1-line block ×3, first 2 shown]
	v_mov_b64_e32 v[6:7], s[2:3]
	v_mov_b64_e32 v[4:5], s[0:1]
	s_and_b32 s2, s6, 0x7ffffff8
	s_mov_b64 s[10:11], 0
.LBB1_4:                                ; =>This Inner Loop Header: Depth=1
	s_wait_kmcnt 0x0
	s_wait_xcnt 0x2
	s_add_nc_u64 s[12:13], s[8:9], s[10:11]
	s_add_co_i32 s0, s0, 8
	s_clause 0x1
	global_load_b128 v[10:13], v8, s[12:13]
	global_load_b128 v[14:17], v8, s[12:13] offset:16
	s_wait_xcnt 0x2
	s_add_nc_u64 s[14:15], s[4:5], s[10:11]
	s_add_nc_u64 s[10:11], s[10:11], 32
	s_cmp_lg_u32 s2, s0
	s_clause 0x1
	global_store_b128 v8, v[4:7], s[12:13]
	global_store_b128 v8, v[4:7], s[12:13] offset:16
	s_wait_loadcnt 0x1
	v_add_nc_u32_e32 v10, v10, v3
	s_delay_alu instid0(VALU_DEP_1) | instskip(NEXT) | instid1(VALU_DEP_1)
	v_add_nc_u32_e32 v11, v11, v10
	v_add_nc_u32_e32 v12, v12, v11
	s_delay_alu instid0(VALU_DEP_1) | instskip(SKIP_1) | instid1(VALU_DEP_1)
	v_add_nc_u32_e32 v13, v13, v12
	s_wait_loadcnt 0x0
	v_add_nc_u32_e32 v0, v14, v13
	s_delay_alu instid0(VALU_DEP_1) | instskip(NEXT) | instid1(VALU_DEP_1)
	v_add_nc_u32_e32 v1, v15, v0
	v_add_nc_u32_e32 v2, v16, v1
	s_delay_alu instid0(VALU_DEP_1)
	v_add_nc_u32_e32 v3, v17, v2
	s_clause 0x1
	global_store_b128 v8, v[10:13], s[14:15] offset:4
	global_store_b128 v8, v[0:3], s[14:15] offset:20
	s_cbranch_scc1 .LBB1_4
.LBB1_5:
	s_and_b32 s6, s6, 7
	s_mov_b32 s3, 0
	s_cmp_eq_u32 s6, 0
	s_cbranch_scc1 .LBB1_8
; %bb.6:
	s_lshl_b64 s[2:3], s[2:3], 2
	s_wait_xcnt 0x0
	v_mov_b32_e32 v0, 0
	s_add_nc_u64 s[0:1], s[4:5], s[2:3]
	s_wait_kmcnt 0x0
	s_add_nc_u64 s[2:3], s[8:9], s[2:3]
	s_add_nc_u64 s[0:1], s[0:1], 4
.LBB1_7:                                ; =>This Inner Loop Header: Depth=1
	global_load_b32 v1, v0, s[2:3]
	s_add_co_i32 s6, s6, -1
	s_delay_alu instid0(SALU_CYCLE_1)
	s_cmp_lg_u32 s6, 0
	s_wait_loadcnt 0x0
	v_add_nc_u32_e32 v3, v1, v3
	s_clause 0x1
	global_store_b32 v0, v3, s[0:1]
	global_store_b32 v0, v0, s[2:3]
	s_wait_xcnt 0x1
	s_add_nc_u64 s[0:1], s[0:1], 4
	s_wait_xcnt 0x0
	s_add_nc_u64 s[2:3], s[2:3], 4
	s_cbranch_scc1 .LBB1_7
.LBB1_8:
	s_endpgm
	.section	.rodata,"a",@progbits
	.p2align	6, 0x0
	.amdhsa_kernel _Z29exclusive_scan_expert_offsetsPiS_i
		.amdhsa_group_segment_fixed_size 0
		.amdhsa_private_segment_fixed_size 0
		.amdhsa_kernarg_size 20
		.amdhsa_user_sgpr_count 2
		.amdhsa_user_sgpr_dispatch_ptr 0
		.amdhsa_user_sgpr_queue_ptr 0
		.amdhsa_user_sgpr_kernarg_segment_ptr 1
		.amdhsa_user_sgpr_dispatch_id 0
		.amdhsa_user_sgpr_kernarg_preload_length 0
		.amdhsa_user_sgpr_kernarg_preload_offset 0
		.amdhsa_user_sgpr_private_segment_size 0
		.amdhsa_wavefront_size32 1
		.amdhsa_uses_dynamic_stack 0
		.amdhsa_enable_private_segment 0
		.amdhsa_system_sgpr_workgroup_id_x 1
		.amdhsa_system_sgpr_workgroup_id_y 0
		.amdhsa_system_sgpr_workgroup_id_z 0
		.amdhsa_system_sgpr_workgroup_info 0
		.amdhsa_system_vgpr_workitem_id 0
		.amdhsa_next_free_vgpr 18
		.amdhsa_next_free_sgpr 16
		.amdhsa_named_barrier_count 0
		.amdhsa_reserve_vcc 0
		.amdhsa_float_round_mode_32 0
		.amdhsa_float_round_mode_16_64 0
		.amdhsa_float_denorm_mode_32 3
		.amdhsa_float_denorm_mode_16_64 3
		.amdhsa_fp16_overflow 0
		.amdhsa_memory_ordered 1
		.amdhsa_forward_progress 1
		.amdhsa_inst_pref_size 4
		.amdhsa_round_robin_scheduling 0
		.amdhsa_exception_fp_ieee_invalid_op 0
		.amdhsa_exception_fp_denorm_src 0
		.amdhsa_exception_fp_ieee_div_zero 0
		.amdhsa_exception_fp_ieee_overflow 0
		.amdhsa_exception_fp_ieee_underflow 0
		.amdhsa_exception_fp_ieee_inexact 0
		.amdhsa_exception_int_div_zero 0
	.end_amdhsa_kernel
	.text
.Lfunc_end1:
	.size	_Z29exclusive_scan_expert_offsetsPiS_i, .Lfunc_end1-_Z29exclusive_scan_expert_offsetsPiS_i
                                        ; -- End function
	.set _Z29exclusive_scan_expert_offsetsPiS_i.num_vgpr, 18
	.set _Z29exclusive_scan_expert_offsetsPiS_i.num_agpr, 0
	.set _Z29exclusive_scan_expert_offsetsPiS_i.numbered_sgpr, 16
	.set _Z29exclusive_scan_expert_offsetsPiS_i.num_named_barrier, 0
	.set _Z29exclusive_scan_expert_offsetsPiS_i.private_seg_size, 0
	.set _Z29exclusive_scan_expert_offsetsPiS_i.uses_vcc, 0
	.set _Z29exclusive_scan_expert_offsetsPiS_i.uses_flat_scratch, 0
	.set _Z29exclusive_scan_expert_offsetsPiS_i.has_dyn_sized_stack, 0
	.set _Z29exclusive_scan_expert_offsetsPiS_i.has_recursion, 0
	.set _Z29exclusive_scan_expert_offsetsPiS_i.has_indirect_call, 0
	.section	.AMDGPU.csdata,"",@progbits
; Kernel info:
; codeLenInByte = 420
; TotalNumSgprs: 16
; NumVgprs: 18
; ScratchSize: 0
; MemoryBound: 0
; FloatMode: 240
; IeeeMode: 1
; LDSByteSize: 0 bytes/workgroup (compile time only)
; SGPRBlocks: 0
; VGPRBlocks: 1
; NumSGPRsForWavesPerEU: 16
; NumVGPRsForWavesPerEU: 18
; NamedBarCnt: 0
; Occupancy: 16
; WaveLimiterHint : 0
; COMPUTE_PGM_RSRC2:SCRATCH_EN: 0
; COMPUTE_PGM_RSRC2:USER_SGPR: 2
; COMPUTE_PGM_RSRC2:TRAP_HANDLER: 0
; COMPUTE_PGM_RSRC2:TGID_X_EN: 1
; COMPUTE_PGM_RSRC2:TGID_Y_EN: 0
; COMPUTE_PGM_RSRC2:TGID_Z_EN: 0
; COMPUTE_PGM_RSRC2:TIDIG_COMP_CNT: 0
	.text
	.protected	_Z24compact_by_expert_kernelPKiS0_PKfiS0_PiS3_Pf ; -- Begin function _Z24compact_by_expert_kernelPKiS0_PKfiS0_PiS3_Pf
	.globl	_Z24compact_by_expert_kernelPKiS0_PKfiS0_PiS3_Pf
	.p2align	8
	.type	_Z24compact_by_expert_kernelPKiS0_PKfiS0_PiS3_Pf,@function
_Z24compact_by_expert_kernelPKiS0_PKfiS0_PiS3_Pf: ; @_Z24compact_by_expert_kernelPKiS0_PKfiS0_PiS3_Pf
; %bb.0:
	s_clause 0x1
	s_load_b32 s2, s[0:1], 0x4c
	s_load_b32 s3, s[0:1], 0x18
	s_bfe_u32 s4, ttmp6, 0x4000c
	s_and_b32 s5, ttmp6, 15
	s_add_co_i32 s4, s4, 1
	s_getreg_b32 s6, hwreg(HW_REG_IB_STS2, 6, 4)
	s_mul_i32 s4, ttmp9, s4
	s_delay_alu instid0(SALU_CYCLE_1) | instskip(SKIP_4) | instid1(SALU_CYCLE_1)
	s_add_co_i32 s5, s5, s4
	s_wait_kmcnt 0x0
	s_and_b32 s2, s2, 0xffff
	s_cmp_eq_u32 s6, 0
	s_cselect_b32 s4, ttmp9, s5
	v_mad_u32 v0, s4, s2, v0
	s_mov_b32 s2, exec_lo
	s_delay_alu instid0(VALU_DEP_1)
	v_cmpx_gt_i32_e64 s3, v0
	s_cbranch_execz .LBB2_2
; %bb.1:
	s_clause 0x2
	s_load_b128 s[12:15], s[0:1], 0x0
	s_load_b64 s[2:3], s[0:1], 0x10
	s_load_b256 s[4:11], s[0:1], 0x20
	v_mov_b32_e32 v2, 1
	s_wait_kmcnt 0x0
	global_load_b32 v1, v0, s[12:13] scale_offset
	s_wait_xcnt 0x0
	s_wait_loadcnt 0x0
	s_clause 0x1
	global_atomic_add_u32 v2, v1, v2, s[6:7] scale_offset th:TH_ATOMIC_RETURN scope:SCOPE_DEV
	global_load_b32 v3, v1, s[4:5] scale_offset
	s_clause 0x1
	global_load_b32 v4, v0, s[14:15] scale_offset
	global_load_b32 v5, v0, s[2:3] scale_offset
	s_wait_loadcnt 0x2
	s_wait_xcnt 0x0
	v_add_nc_u32_e32 v0, v3, v2
	s_wait_loadcnt 0x1
	global_store_b32 v0, v4, s[8:9] scale_offset
	s_wait_loadcnt 0x0
	global_store_b32 v0, v5, s[10:11] scale_offset
.LBB2_2:
	s_endpgm
	.section	.rodata,"a",@progbits
	.p2align	6, 0x0
	.amdhsa_kernel _Z24compact_by_expert_kernelPKiS0_PKfiS0_PiS3_Pf
		.amdhsa_group_segment_fixed_size 0
		.amdhsa_private_segment_fixed_size 0
		.amdhsa_kernarg_size 320
		.amdhsa_user_sgpr_count 2
		.amdhsa_user_sgpr_dispatch_ptr 0
		.amdhsa_user_sgpr_queue_ptr 0
		.amdhsa_user_sgpr_kernarg_segment_ptr 1
		.amdhsa_user_sgpr_dispatch_id 0
		.amdhsa_user_sgpr_kernarg_preload_length 0
		.amdhsa_user_sgpr_kernarg_preload_offset 0
		.amdhsa_user_sgpr_private_segment_size 0
		.amdhsa_wavefront_size32 1
		.amdhsa_uses_dynamic_stack 0
		.amdhsa_enable_private_segment 0
		.amdhsa_system_sgpr_workgroup_id_x 1
		.amdhsa_system_sgpr_workgroup_id_y 0
		.amdhsa_system_sgpr_workgroup_id_z 0
		.amdhsa_system_sgpr_workgroup_info 0
		.amdhsa_system_vgpr_workitem_id 0
		.amdhsa_next_free_vgpr 6
		.amdhsa_next_free_sgpr 16
		.amdhsa_named_barrier_count 0
		.amdhsa_reserve_vcc 0
		.amdhsa_float_round_mode_32 0
		.amdhsa_float_round_mode_16_64 0
		.amdhsa_float_denorm_mode_32 3
		.amdhsa_float_denorm_mode_16_64 3
		.amdhsa_fp16_overflow 0
		.amdhsa_memory_ordered 1
		.amdhsa_forward_progress 1
		.amdhsa_inst_pref_size 3
		.amdhsa_round_robin_scheduling 0
		.amdhsa_exception_fp_ieee_invalid_op 0
		.amdhsa_exception_fp_denorm_src 0
		.amdhsa_exception_fp_ieee_div_zero 0
		.amdhsa_exception_fp_ieee_overflow 0
		.amdhsa_exception_fp_ieee_underflow 0
		.amdhsa_exception_fp_ieee_inexact 0
		.amdhsa_exception_int_div_zero 0
	.end_amdhsa_kernel
	.text
.Lfunc_end2:
	.size	_Z24compact_by_expert_kernelPKiS0_PKfiS0_PiS3_Pf, .Lfunc_end2-_Z24compact_by_expert_kernelPKiS0_PKfiS0_PiS3_Pf
                                        ; -- End function
	.set _Z24compact_by_expert_kernelPKiS0_PKfiS0_PiS3_Pf.num_vgpr, 6
	.set _Z24compact_by_expert_kernelPKiS0_PKfiS0_PiS3_Pf.num_agpr, 0
	.set _Z24compact_by_expert_kernelPKiS0_PKfiS0_PiS3_Pf.numbered_sgpr, 16
	.set _Z24compact_by_expert_kernelPKiS0_PKfiS0_PiS3_Pf.num_named_barrier, 0
	.set _Z24compact_by_expert_kernelPKiS0_PKfiS0_PiS3_Pf.private_seg_size, 0
	.set _Z24compact_by_expert_kernelPKiS0_PKfiS0_PiS3_Pf.uses_vcc, 0
	.set _Z24compact_by_expert_kernelPKiS0_PKfiS0_PiS3_Pf.uses_flat_scratch, 0
	.set _Z24compact_by_expert_kernelPKiS0_PKfiS0_PiS3_Pf.has_dyn_sized_stack, 0
	.set _Z24compact_by_expert_kernelPKiS0_PKfiS0_PiS3_Pf.has_recursion, 0
	.set _Z24compact_by_expert_kernelPKiS0_PKfiS0_PiS3_Pf.has_indirect_call, 0
	.section	.AMDGPU.csdata,"",@progbits
; Kernel info:
; codeLenInByte = 260
; TotalNumSgprs: 16
; NumVgprs: 6
; ScratchSize: 0
; MemoryBound: 0
; FloatMode: 240
; IeeeMode: 1
; LDSByteSize: 0 bytes/workgroup (compile time only)
; SGPRBlocks: 0
; VGPRBlocks: 0
; NumSGPRsForWavesPerEU: 16
; NumVGPRsForWavesPerEU: 6
; NamedBarCnt: 0
; Occupancy: 16
; WaveLimiterHint : 1
; COMPUTE_PGM_RSRC2:SCRATCH_EN: 0
; COMPUTE_PGM_RSRC2:USER_SGPR: 2
; COMPUTE_PGM_RSRC2:TRAP_HANDLER: 0
; COMPUTE_PGM_RSRC2:TGID_X_EN: 1
; COMPUTE_PGM_RSRC2:TGID_Y_EN: 0
; COMPUTE_PGM_RSRC2:TGID_Z_EN: 0
; COMPUTE_PGM_RSRC2:TIDIG_COMP_CNT: 0
	.text
	.protected	_Z23gather_rows_vec4_kernelPKfPKiPfii ; -- Begin function _Z23gather_rows_vec4_kernelPKfPKiPfii
	.globl	_Z23gather_rows_vec4_kernelPKfPKiPfii
	.p2align	8
	.type	_Z23gather_rows_vec4_kernelPKfPKiPfii,@function
_Z23gather_rows_vec4_kernelPKfPKiPfii:  ; @_Z23gather_rows_vec4_kernelPKfPKiPfii
; %bb.0:
	s_clause 0x1
	s_load_b32 s4, s[0:1], 0x2c
	s_load_b64 s[2:3], s[0:1], 0x18
	s_bfe_u32 s6, ttmp6, 0x4000c
	s_bfe_u32 s7, ttmp6, 0x40010
	s_add_co_i32 s6, s6, 1
	s_add_co_i32 s7, s7, 1
	s_and_b32 s5, ttmp6, 15
	s_bfe_u32 s8, ttmp6, 0x40004
	s_mul_i32 s6, ttmp9, s6
	s_mul_i32 s7, ttmp7, s7
	s_getreg_b32 s9, hwreg(HW_REG_IB_STS2, 6, 4)
	s_add_co_i32 s5, s5, s6
	s_add_co_i32 s8, s8, s7
	s_wait_kmcnt 0x0
	s_and_b32 s4, s4, 0xffff
	s_cmp_eq_u32 s9, 0
	s_cselect_b32 s5, ttmp9, s5
	s_delay_alu instid0(SALU_CYCLE_1) | instskip(SKIP_1) | instid1(SALU_CYCLE_1)
	v_mad_u32 v0, s5, s4, v0
	s_cselect_b32 s4, ttmp7, s8
	s_cmp_lt_i32 s4, s2
	s_cselect_b32 s2, -1, 0
	s_delay_alu instid0(VALU_DEP_1) | instskip(SKIP_1) | instid1(SALU_CYCLE_1)
	v_cmp_gt_i32_e32 vcc_lo, s3, v0
	s_and_b32 s2, s2, vcc_lo
	s_and_saveexec_b32 s5, s2
	s_cbranch_execz .LBB3_2
; %bb.1:
	s_load_b128 s[8:11], s[0:1], 0x0
	s_ashr_i32 s5, s4, 31
	s_wait_xcnt 0x0
	s_load_b64 s[0:1], s[0:1], 0x10
	s_lshl_b64 s[6:7], s[4:5], 2
	s_wait_kmcnt 0x0
	s_add_nc_u64 s[6:7], s[10:11], s[6:7]
	s_load_b32 s2, s[6:7], 0x0
	s_wait_kmcnt 0x0
	v_mad_u32 v1, s2, s3, v0
	v_mad_u32 v0, s3, s4, v0
	global_load_b128 v[2:5], v1, s[8:9] scale_offset
	s_wait_loadcnt 0x0
	global_store_b128 v0, v[2:5], s[0:1] scale_offset
.LBB3_2:
	s_endpgm
	.section	.rodata,"a",@progbits
	.p2align	6, 0x0
	.amdhsa_kernel _Z23gather_rows_vec4_kernelPKfPKiPfii
		.amdhsa_group_segment_fixed_size 0
		.amdhsa_private_segment_fixed_size 0
		.amdhsa_kernarg_size 288
		.amdhsa_user_sgpr_count 2
		.amdhsa_user_sgpr_dispatch_ptr 0
		.amdhsa_user_sgpr_queue_ptr 0
		.amdhsa_user_sgpr_kernarg_segment_ptr 1
		.amdhsa_user_sgpr_dispatch_id 0
		.amdhsa_user_sgpr_kernarg_preload_length 0
		.amdhsa_user_sgpr_kernarg_preload_offset 0
		.amdhsa_user_sgpr_private_segment_size 0
		.amdhsa_wavefront_size32 1
		.amdhsa_uses_dynamic_stack 0
		.amdhsa_enable_private_segment 0
		.amdhsa_system_sgpr_workgroup_id_x 1
		.amdhsa_system_sgpr_workgroup_id_y 1
		.amdhsa_system_sgpr_workgroup_id_z 0
		.amdhsa_system_sgpr_workgroup_info 0
		.amdhsa_system_vgpr_workitem_id 0
		.amdhsa_next_free_vgpr 6
		.amdhsa_next_free_sgpr 12
		.amdhsa_named_barrier_count 0
		.amdhsa_reserve_vcc 1
		.amdhsa_float_round_mode_32 0
		.amdhsa_float_round_mode_16_64 0
		.amdhsa_float_denorm_mode_32 3
		.amdhsa_float_denorm_mode_16_64 3
		.amdhsa_fp16_overflow 0
		.amdhsa_memory_ordered 1
		.amdhsa_forward_progress 1
		.amdhsa_inst_pref_size 2
		.amdhsa_round_robin_scheduling 0
		.amdhsa_exception_fp_ieee_invalid_op 0
		.amdhsa_exception_fp_denorm_src 0
		.amdhsa_exception_fp_ieee_div_zero 0
		.amdhsa_exception_fp_ieee_overflow 0
		.amdhsa_exception_fp_ieee_underflow 0
		.amdhsa_exception_fp_ieee_inexact 0
		.amdhsa_exception_int_div_zero 0
	.end_amdhsa_kernel
	.text
.Lfunc_end3:
	.size	_Z23gather_rows_vec4_kernelPKfPKiPfii, .Lfunc_end3-_Z23gather_rows_vec4_kernelPKfPKiPfii
                                        ; -- End function
	.set _Z23gather_rows_vec4_kernelPKfPKiPfii.num_vgpr, 6
	.set _Z23gather_rows_vec4_kernelPKfPKiPfii.num_agpr, 0
	.set _Z23gather_rows_vec4_kernelPKfPKiPfii.numbered_sgpr, 12
	.set _Z23gather_rows_vec4_kernelPKfPKiPfii.num_named_barrier, 0
	.set _Z23gather_rows_vec4_kernelPKfPKiPfii.private_seg_size, 0
	.set _Z23gather_rows_vec4_kernelPKfPKiPfii.uses_vcc, 1
	.set _Z23gather_rows_vec4_kernelPKfPKiPfii.uses_flat_scratch, 0
	.set _Z23gather_rows_vec4_kernelPKfPKiPfii.has_dyn_sized_stack, 0
	.set _Z23gather_rows_vec4_kernelPKfPKiPfii.has_recursion, 0
	.set _Z23gather_rows_vec4_kernelPKfPKiPfii.has_indirect_call, 0
	.section	.AMDGPU.csdata,"",@progbits
; Kernel info:
; codeLenInByte = 236
; TotalNumSgprs: 14
; NumVgprs: 6
; ScratchSize: 0
; MemoryBound: 0
; FloatMode: 240
; IeeeMode: 1
; LDSByteSize: 0 bytes/workgroup (compile time only)
; SGPRBlocks: 0
; VGPRBlocks: 0
; NumSGPRsForWavesPerEU: 14
; NumVGPRsForWavesPerEU: 6
; NamedBarCnt: 0
; Occupancy: 16
; WaveLimiterHint : 0
; COMPUTE_PGM_RSRC2:SCRATCH_EN: 0
; COMPUTE_PGM_RSRC2:USER_SGPR: 2
; COMPUTE_PGM_RSRC2:TRAP_HANDLER: 0
; COMPUTE_PGM_RSRC2:TGID_X_EN: 1
; COMPUTE_PGM_RSRC2:TGID_Y_EN: 1
; COMPUTE_PGM_RSRC2:TGID_Z_EN: 0
; COMPUTE_PGM_RSRC2:TIDIG_COMP_CNT: 0
	.text
	.protected	_Z18gather_rows_kernelPKfPKiPfii ; -- Begin function _Z18gather_rows_kernelPKfPKiPfii
	.globl	_Z18gather_rows_kernelPKfPKiPfii
	.p2align	8
	.type	_Z18gather_rows_kernelPKfPKiPfii,@function
_Z18gather_rows_kernelPKfPKiPfii:       ; @_Z18gather_rows_kernelPKfPKiPfii
; %bb.0:
	s_clause 0x1
	s_load_b32 s4, s[0:1], 0x2c
	s_load_b64 s[2:3], s[0:1], 0x18
	s_bfe_u32 s6, ttmp6, 0x4000c
	s_bfe_u32 s7, ttmp6, 0x40010
	s_add_co_i32 s6, s6, 1
	s_add_co_i32 s7, s7, 1
	s_and_b32 s5, ttmp6, 15
	s_bfe_u32 s8, ttmp6, 0x40004
	s_mul_i32 s6, ttmp9, s6
	s_mul_i32 s7, ttmp7, s7
	s_getreg_b32 s9, hwreg(HW_REG_IB_STS2, 6, 4)
	s_add_co_i32 s5, s5, s6
	s_add_co_i32 s8, s8, s7
	s_wait_kmcnt 0x0
	s_and_b32 s4, s4, 0xffff
	s_cmp_eq_u32 s9, 0
	s_cselect_b32 s5, ttmp9, s5
	s_delay_alu instid0(SALU_CYCLE_1) | instskip(SKIP_1) | instid1(SALU_CYCLE_1)
	v_mad_u32 v0, s5, s4, v0
	s_cselect_b32 s4, ttmp7, s8
	s_cmp_lt_i32 s4, s2
	s_cselect_b32 s2, -1, 0
	s_delay_alu instid0(VALU_DEP_1) | instskip(SKIP_1) | instid1(SALU_CYCLE_1)
	v_cmp_gt_i32_e32 vcc_lo, s3, v0
	s_and_b32 s2, s2, vcc_lo
	s_and_saveexec_b32 s5, s2
	s_cbranch_execz .LBB4_2
; %bb.1:
	s_load_b128 s[8:11], s[0:1], 0x0
	s_ashr_i32 s5, s4, 31
	s_wait_xcnt 0x0
	s_load_b64 s[0:1], s[0:1], 0x10
	s_lshl_b64 s[6:7], s[4:5], 2
	s_wait_kmcnt 0x0
	s_add_nc_u64 s[6:7], s[10:11], s[6:7]
	s_load_b32 s2, s[6:7], 0x0
	s_wait_kmcnt 0x0
	v_mad_u32 v1, s2, s3, v0
	v_mad_u32 v0, s3, s4, v0
	global_load_b32 v1, v1, s[8:9] scale_offset
	s_wait_loadcnt 0x0
	global_store_b32 v0, v1, s[0:1] scale_offset
.LBB4_2:
	s_endpgm
	.section	.rodata,"a",@progbits
	.p2align	6, 0x0
	.amdhsa_kernel _Z18gather_rows_kernelPKfPKiPfii
		.amdhsa_group_segment_fixed_size 0
		.amdhsa_private_segment_fixed_size 0
		.amdhsa_kernarg_size 288
		.amdhsa_user_sgpr_count 2
		.amdhsa_user_sgpr_dispatch_ptr 0
		.amdhsa_user_sgpr_queue_ptr 0
		.amdhsa_user_sgpr_kernarg_segment_ptr 1
		.amdhsa_user_sgpr_dispatch_id 0
		.amdhsa_user_sgpr_kernarg_preload_length 0
		.amdhsa_user_sgpr_kernarg_preload_offset 0
		.amdhsa_user_sgpr_private_segment_size 0
		.amdhsa_wavefront_size32 1
		.amdhsa_uses_dynamic_stack 0
		.amdhsa_enable_private_segment 0
		.amdhsa_system_sgpr_workgroup_id_x 1
		.amdhsa_system_sgpr_workgroup_id_y 1
		.amdhsa_system_sgpr_workgroup_id_z 0
		.amdhsa_system_sgpr_workgroup_info 0
		.amdhsa_system_vgpr_workitem_id 0
		.amdhsa_next_free_vgpr 2
		.amdhsa_next_free_sgpr 12
		.amdhsa_named_barrier_count 0
		.amdhsa_reserve_vcc 1
		.amdhsa_float_round_mode_32 0
		.amdhsa_float_round_mode_16_64 0
		.amdhsa_float_denorm_mode_32 3
		.amdhsa_float_denorm_mode_16_64 3
		.amdhsa_fp16_overflow 0
		.amdhsa_memory_ordered 1
		.amdhsa_forward_progress 1
		.amdhsa_inst_pref_size 2
		.amdhsa_round_robin_scheduling 0
		.amdhsa_exception_fp_ieee_invalid_op 0
		.amdhsa_exception_fp_denorm_src 0
		.amdhsa_exception_fp_ieee_div_zero 0
		.amdhsa_exception_fp_ieee_overflow 0
		.amdhsa_exception_fp_ieee_underflow 0
		.amdhsa_exception_fp_ieee_inexact 0
		.amdhsa_exception_int_div_zero 0
	.end_amdhsa_kernel
	.text
.Lfunc_end4:
	.size	_Z18gather_rows_kernelPKfPKiPfii, .Lfunc_end4-_Z18gather_rows_kernelPKfPKiPfii
                                        ; -- End function
	.set _Z18gather_rows_kernelPKfPKiPfii.num_vgpr, 2
	.set _Z18gather_rows_kernelPKfPKiPfii.num_agpr, 0
	.set _Z18gather_rows_kernelPKfPKiPfii.numbered_sgpr, 12
	.set _Z18gather_rows_kernelPKfPKiPfii.num_named_barrier, 0
	.set _Z18gather_rows_kernelPKfPKiPfii.private_seg_size, 0
	.set _Z18gather_rows_kernelPKfPKiPfii.uses_vcc, 1
	.set _Z18gather_rows_kernelPKfPKiPfii.uses_flat_scratch, 0
	.set _Z18gather_rows_kernelPKfPKiPfii.has_dyn_sized_stack, 0
	.set _Z18gather_rows_kernelPKfPKiPfii.has_recursion, 0
	.set _Z18gather_rows_kernelPKfPKiPfii.has_indirect_call, 0
	.section	.AMDGPU.csdata,"",@progbits
; Kernel info:
; codeLenInByte = 236
; TotalNumSgprs: 14
; NumVgprs: 2
; ScratchSize: 0
; MemoryBound: 0
; FloatMode: 240
; IeeeMode: 1
; LDSByteSize: 0 bytes/workgroup (compile time only)
; SGPRBlocks: 0
; VGPRBlocks: 0
; NumSGPRsForWavesPerEU: 14
; NumVGPRsForWavesPerEU: 2
; NamedBarCnt: 0
; Occupancy: 16
; WaveLimiterHint : 1
; COMPUTE_PGM_RSRC2:SCRATCH_EN: 0
; COMPUTE_PGM_RSRC2:USER_SGPR: 2
; COMPUTE_PGM_RSRC2:TRAP_HANDLER: 0
; COMPUTE_PGM_RSRC2:TGID_X_EN: 1
; COMPUTE_PGM_RSRC2:TGID_Y_EN: 1
; COMPUTE_PGM_RSRC2:TGID_Z_EN: 0
; COMPUTE_PGM_RSRC2:TIDIG_COMP_CNT: 0
	.text
	.protected	_Z23build_expert_work_queuePKiPiP4Int2i ; -- Begin function _Z23build_expert_work_queuePKiPiP4Int2i
	.globl	_Z23build_expert_work_queuePKiPiP4Int2i
	.p2align	8
	.type	_Z23build_expert_work_queuePKiPiP4Int2i,@function
_Z23build_expert_work_queuePKiPiP4Int2i: ; @_Z23build_expert_work_queuePKiPiP4Int2i
; %bb.0:
	s_bfe_u32 s2, ttmp6, 0x4000c
	s_and_b32 s3, ttmp6, 15
	s_add_co_i32 s2, s2, 1
	s_getreg_b32 s4, hwreg(HW_REG_IB_STS2, 6, 4)
	s_mul_i32 s2, ttmp9, s2
	s_mov_b32 s7, 0
	s_add_co_i32 s3, s3, s2
	s_cmp_eq_u32 s4, 0
	s_cselect_b32 s2, ttmp9, s3
	s_delay_alu instid0(SALU_CYCLE_1) | instskip(SKIP_1) | instid1(VALU_DEP_1)
	v_or_b32_e32 v0, s2, v0
	s_mov_b32 s2, exec_lo
	v_cmpx_eq_u32_e32 0, v0
	s_cbranch_execz .LBB5_7
; %bb.1:
	s_load_b96 s[4:6], s[0:1], 0x10
	s_mov_b32 s8, 0
	s_wait_kmcnt 0x0
	s_cmp_lt_i32 s6, 1
	s_cbranch_scc1 .LBB5_6
; %bb.2:
	s_load_b128 s[0:3], s[0:1], 0x0
	v_mov_b32_e32 v0, 0
	s_mov_b32 s9, 0
	s_wait_kmcnt 0x0
	s_clause 0x1
	s_load_b32 s11, s[0:1], 0x0
	s_load_b32 s10, s[0:1], s9 offset:0x4 scale_offset
	s_wait_kmcnt 0x0
	s_sub_co_i32 s12, s10, s11
	s_delay_alu instid0(SALU_CYCLE_1)
	s_cmp_lt_i32 s12, 1
	s_cbranch_scc1 .LBB5_4
.LBB5_3:
	s_mul_i32 s14, s8, 3
	v_dual_mov_b32 v2, s9 :: v_dual_mov_b32 v3, s11
	s_ashr_i32 s15, s14, 31
	v_mov_b32_e32 v4, s12
	s_lshl_b64 s[14:15], s[14:15], 2
	s_add_co_i32 s8, s8, 1
	s_add_nc_u64 s[14:15], s[2:3], s[14:15]
	s_max_i32 s7, s12, s7
	global_store_b96 v0, v[2:4], s[14:15]
.LBB5_4:                                ; =>This Inner Loop Header: Depth=1
	s_add_co_i32 s9, s9, 1
	s_delay_alu instid0(SALU_CYCLE_1)
	s_cmp_eq_u32 s9, s6
	s_cbranch_scc1 .LBB5_6
; %bb.5:                                ;   in Loop: Header=BB5_4 Depth=1
	s_mov_b32 s11, s10
	s_load_b32 s10, s[0:1], s9 offset:0x4 scale_offset
	s_wait_kmcnt 0x0
	s_sub_co_i32 s12, s10, s11
	s_delay_alu instid0(SALU_CYCLE_1)
	s_cmp_lt_i32 s12, 1
	s_cbranch_scc0 .LBB5_3
	s_branch .LBB5_4
.LBB5_6:
	s_wait_xcnt 0x0
	v_dual_mov_b32 v0, s8 :: v_dual_mov_b32 v1, s7
	v_mov_b32_e32 v2, 0
	global_store_b64 v2, v[0:1], s[4:5]
.LBB5_7:
	s_endpgm
	.section	.rodata,"a",@progbits
	.p2align	6, 0x0
	.amdhsa_kernel _Z23build_expert_work_queuePKiPiP4Int2i
		.amdhsa_group_segment_fixed_size 0
		.amdhsa_private_segment_fixed_size 0
		.amdhsa_kernarg_size 28
		.amdhsa_user_sgpr_count 2
		.amdhsa_user_sgpr_dispatch_ptr 0
		.amdhsa_user_sgpr_queue_ptr 0
		.amdhsa_user_sgpr_kernarg_segment_ptr 1
		.amdhsa_user_sgpr_dispatch_id 0
		.amdhsa_user_sgpr_kernarg_preload_length 0
		.amdhsa_user_sgpr_kernarg_preload_offset 0
		.amdhsa_user_sgpr_private_segment_size 0
		.amdhsa_wavefront_size32 1
		.amdhsa_uses_dynamic_stack 0
		.amdhsa_enable_private_segment 0
		.amdhsa_system_sgpr_workgroup_id_x 1
		.amdhsa_system_sgpr_workgroup_id_y 0
		.amdhsa_system_sgpr_workgroup_id_z 0
		.amdhsa_system_sgpr_workgroup_info 0
		.amdhsa_system_vgpr_workitem_id 0
		.amdhsa_next_free_vgpr 5
		.amdhsa_next_free_sgpr 16
		.amdhsa_named_barrier_count 0
		.amdhsa_reserve_vcc 0
		.amdhsa_float_round_mode_32 0
		.amdhsa_float_round_mode_16_64 0
		.amdhsa_float_denorm_mode_32 3
		.amdhsa_float_denorm_mode_16_64 3
		.amdhsa_fp16_overflow 0
		.amdhsa_memory_ordered 1
		.amdhsa_forward_progress 1
		.amdhsa_inst_pref_size 3
		.amdhsa_round_robin_scheduling 0
		.amdhsa_exception_fp_ieee_invalid_op 0
		.amdhsa_exception_fp_denorm_src 0
		.amdhsa_exception_fp_ieee_div_zero 0
		.amdhsa_exception_fp_ieee_overflow 0
		.amdhsa_exception_fp_ieee_underflow 0
		.amdhsa_exception_fp_ieee_inexact 0
		.amdhsa_exception_int_div_zero 0
	.end_amdhsa_kernel
	.text
.Lfunc_end5:
	.size	_Z23build_expert_work_queuePKiPiP4Int2i, .Lfunc_end5-_Z23build_expert_work_queuePKiPiP4Int2i
                                        ; -- End function
	.set _Z23build_expert_work_queuePKiPiP4Int2i.num_vgpr, 5
	.set _Z23build_expert_work_queuePKiPiP4Int2i.num_agpr, 0
	.set _Z23build_expert_work_queuePKiPiP4Int2i.numbered_sgpr, 16
	.set _Z23build_expert_work_queuePKiPiP4Int2i.num_named_barrier, 0
	.set _Z23build_expert_work_queuePKiPiP4Int2i.private_seg_size, 0
	.set _Z23build_expert_work_queuePKiPiP4Int2i.uses_vcc, 0
	.set _Z23build_expert_work_queuePKiPiP4Int2i.uses_flat_scratch, 0
	.set _Z23build_expert_work_queuePKiPiP4Int2i.has_dyn_sized_stack, 0
	.set _Z23build_expert_work_queuePKiPiP4Int2i.has_recursion, 0
	.set _Z23build_expert_work_queuePKiPiP4Int2i.has_indirect_call, 0
	.section	.AMDGPU.csdata,"",@progbits
; Kernel info:
; codeLenInByte = 276
; TotalNumSgprs: 16
; NumVgprs: 5
; ScratchSize: 0
; MemoryBound: 0
; FloatMode: 240
; IeeeMode: 1
; LDSByteSize: 0 bytes/workgroup (compile time only)
; SGPRBlocks: 0
; VGPRBlocks: 0
; NumSGPRsForWavesPerEU: 16
; NumVGPRsForWavesPerEU: 5
; NamedBarCnt: 0
; Occupancy: 16
; WaveLimiterHint : 0
; COMPUTE_PGM_RSRC2:SCRATCH_EN: 0
; COMPUTE_PGM_RSRC2:USER_SGPR: 2
; COMPUTE_PGM_RSRC2:TRAP_HANDLER: 0
; COMPUTE_PGM_RSRC2:TGID_X_EN: 1
; COMPUTE_PGM_RSRC2:TGID_Y_EN: 0
; COMPUTE_PGM_RSRC2:TGID_Z_EN: 0
; COMPUTE_PGM_RSRC2:TIDIG_COMP_CNT: 0
	.text
	.protected	_Z25classify_and_build_queuesPKiiiffPiS1_P8MoEStats ; -- Begin function _Z25classify_and_build_queuesPKiiiffPiS1_P8MoEStats
	.globl	_Z25classify_and_build_queuesPKiiiffPiS1_P8MoEStats
	.p2align	8
	.type	_Z25classify_and_build_queuesPKiiiffPiS1_P8MoEStats,@function
_Z25classify_and_build_queuesPKiiiffPiS1_P8MoEStats: ; @_Z25classify_and_build_queuesPKiiiffPiS1_P8MoEStats
; %bb.0:
	s_bfe_u32 s2, ttmp6, 0x4000c
	s_and_b32 s3, ttmp6, 15
	s_add_co_i32 s2, s2, 1
	s_getreg_b32 s4, hwreg(HW_REG_IB_STS2, 6, 4)
	s_mul_i32 s2, ttmp9, s2
	s_mov_b32 s16, 0
	s_add_co_i32 s3, s3, s2
	s_cmp_eq_u32 s4, 0
	s_cselect_b32 s2, ttmp9, s3
	s_delay_alu instid0(SALU_CYCLE_1) | instskip(SKIP_1) | instid1(VALU_DEP_1)
	v_or_b32_e32 v0, s2, v0
	s_mov_b32 s2, exec_lo
	v_cmpx_eq_u32_e32 0, v0
	s_cbranch_execz .LBB6_18
; %bb.1:
	s_clause 0x2
	s_load_b128 s[4:7], s[0:1], 0x8
	s_load_b64 s[14:15], s[0:1], 0x0
	s_load_b64 s[2:3], s[0:1], 0x28
	s_wait_kmcnt 0x0
	s_cmp_gt_i32 s4, 0
	s_cselect_b32 s17, -1, 0
	s_cmp_lt_i32 s4, 1
	s_cbranch_scc1 .LBB6_14
; %bb.2:
	s_load_b32 s19, s[14:15], 0x0
	s_add_nc_u64 s[8:9], s[14:15], 4
	s_mov_b64 s[12:13], 0
	s_mov_b32 s11, 0
	s_mov_b32 s18, s4
.LBB6_3:                                ; =>This Inner Loop Header: Depth=1
	s_load_b32 s20, s[8:9], 0x0
	s_wait_xcnt 0x0
	s_add_nc_u64 s[8:9], s[8:9], 4
	s_wait_kmcnt 0x0
	s_sub_co_i32 s10, s20, s19
	s_delay_alu instid0(SALU_CYCLE_1)
	s_cmp_gt_i32 s10, 0
	s_cselect_b32 s19, -1, 0
	s_max_i32 s10, s10, 0
	s_cmp_lg_u32 s19, 0
	s_mov_b32 s19, s20
	s_add_co_ci_u32 s16, s16, 0
	s_add_co_i32 s18, s18, -1
	s_add_nc_u64 s[12:13], s[12:13], s[10:11]
	s_cmp_eq_u32 s18, 0
	s_cbranch_scc0 .LBB6_3
; %bb.4:
	s_load_b128 s[8:11], s[0:1], 0x18
	s_cmp_lg_u32 s16, 0
	s_wait_xcnt 0x0
	s_mov_b32 s1, 0
	s_cbranch_scc0 .LBB6_15
.LBB6_5:
	s_and_not1_b32 vcc_lo, exec_lo, s17
	s_cbranch_vccnz .LBB6_16
; %bb.6:
	s_clz_i32_u32 s0, s13
	s_load_b32 s19, s[14:15], 0x0
	s_min_u32 s17, s0, 32
	s_delay_alu instid0(SALU_CYCLE_1) | instskip(NEXT) | instid1(SALU_CYCLE_1)
	s_lshl_b64 s[0:1], s[12:13], s17
	s_min_u32 s0, s0, 1
	s_delay_alu instid0(SALU_CYCLE_1) | instskip(SKIP_4) | instid1(SALU_CYCLE_1)
	s_or_b32 s0, s1, s0
	s_sub_co_i32 s1, 32, s17
	s_cvt_f32_u32 s0, s0
	s_cmp_lt_u32 s16, 13
	s_mov_b32 s17, 0
	v_ldexp_f32 v0, s0, s1
	s_cvt_f32_u32 s0, s16
	s_delay_alu instid0(VALU_DEP_1) | instid1(SALU_CYCLE_3)
	v_div_scale_f32 v1, null, s0, s0, v0
	v_div_scale_f32 v4, vcc_lo, v0, s0, v0
	s_delay_alu instid0(VALU_DEP_2)
	v_rcp_f32_e32 v2, v1
	v_nop
	v_xor_b32_e32 v1, 0x80000000, v1
	s_delay_alu instid0(TRANS32_DEP_1) | instid1(VALU_DEP_1)
	v_fma_f32 v3, v1, v2, 1.0
	s_delay_alu instid0(VALU_DEP_1) | instskip(NEXT) | instid1(VALU_DEP_1)
	v_fmac_f32_e32 v2, v3, v2
	v_mul_f32_e32 v3, v4, v2
	s_delay_alu instid0(VALU_DEP_1) | instskip(NEXT) | instid1(VALU_DEP_1)
	v_fma_f32 v5, v1, v3, v4
	v_fmac_f32_e32 v3, v5, v2
	s_delay_alu instid0(VALU_DEP_1) | instskip(NEXT) | instid1(VALU_DEP_1)
	v_fmac_f32_e32 v4, v1, v3
	v_div_fmas_f32 v1, v4, v2, v3
	s_delay_alu instid0(VALU_DEP_1) | instskip(SKIP_3) | instid1(VALU_DEP_1)
	v_div_fixup_f32 v0, v1, s0, v0
	s_cselect_b32 s0, s6, s7
	s_cmp_gt_i32 s16, s5
	s_cselect_b32 s6, -1, 0
	v_readfirstlane_b32 s1, v0
	s_and_b32 s5, s6, exec_lo
	s_cselect_b32 s0, s0, 1.0
	v_mov_b32_e32 v0, 0
	s_mov_b32 s5, 0
	s_mul_f32 s0, s1, s0
	s_delay_alu instid0(SALU_CYCLE_3) | instskip(SKIP_1) | instid1(SALU_CYCLE_2)
	s_ceil_f32 s1, s0
	s_mov_b32 s0, 0
	s_cvt_i32_f32 s7, s1
	s_mov_b32 s1, 0
	s_load_b32 s18, s[14:15], s17 offset:0x4 scale_offset
	s_wait_kmcnt 0x0
	s_sub_co_i32 s20, s18, s19
	s_delay_alu instid0(SALU_CYCLE_1)
	s_cmp_lt_i32 s20, 1
	s_cbranch_scc1 .LBB6_11
.LBB6_7:
	s_cmp_lt_i32 s20, s7
	s_mov_b32 s23, -1
	s_cselect_b32 s21, -1, 0
                                        ; implicit-def: $sgpr22
	s_delay_alu instid0(SALU_CYCLE_1) | instskip(NEXT) | instid1(SALU_CYCLE_1)
	s_and_b32 s21, s6, s21
	s_and_b32 vcc_lo, exec_lo, s21
                                        ; implicit-def: $sgpr21
	s_cbranch_vccnz .LBB6_9
; %bb.8:
	s_mul_i32 s22, s1, 3
	v_dual_mov_b32 v2, s17 :: v_dual_mov_b32 v3, s19
	s_ashr_i32 s23, s22, 31
	v_mov_b32_e32 v4, s20
	s_lshl_b64 s[22:23], s[22:23], 2
	s_add_co_i32 s21, s1, 1
	s_add_nc_u64 s[24:25], s[8:9], s[22:23]
	s_max_i32 s22, s20, s0
	s_mov_b32 s23, 0
	global_store_b96 v0, v[2:4], s[24:25]
.LBB6_9:
	s_and_not1_b32 vcc_lo, exec_lo, s23
	s_cbranch_vccnz .LBB6_13
; %bb.10:
	s_mul_i32 s22, s5, 3
	s_wait_xcnt 0x0
	v_dual_mov_b32 v2, s17 :: v_dual_mov_b32 v3, s19
	s_ashr_i32 s23, s22, 31
	v_mov_b32_e32 v4, s20
	s_lshl_b64 s[20:21], s[22:23], 2
	s_add_co_i32 s5, s5, 1
	s_add_nc_u64 s[20:21], s[10:11], s[20:21]
	global_store_b96 v0, v[2:4], s[20:21]
.LBB6_11:
	s_add_co_i32 s17, s17, 1
	s_delay_alu instid0(SALU_CYCLE_1)
	s_cmp_lg_u32 s17, s4
	s_cbranch_scc0 .LBB6_17
.LBB6_12:
	s_mov_b32 s19, s18
	s_load_b32 s18, s[14:15], s17 offset:0x4 scale_offset
	s_wait_kmcnt 0x0
	s_sub_co_i32 s20, s18, s19
	s_delay_alu instid0(SALU_CYCLE_1)
	s_cmp_lt_i32 s20, 1
	s_cbranch_scc0 .LBB6_7
	s_branch .LBB6_11
.LBB6_13:
	s_mov_b32 s1, s21
	s_mov_b32 s0, s22
	s_add_co_i32 s17, s17, 1
	s_delay_alu instid0(SALU_CYCLE_1)
	s_cmp_lg_u32 s17, s4
	s_cbranch_scc1 .LBB6_12
	s_branch .LBB6_17
.LBB6_14:
	s_mov_b64 s[12:13], 0
	s_load_b128 s[8:11], s[0:1], 0x18
	s_cmp_lg_u32 s16, 0
	s_wait_xcnt 0x0
	s_mov_b32 s1, 0
	s_cbranch_scc1 .LBB6_5
.LBB6_15:
	s_mov_b64 s[12:13], 0
	s_mov_b32 s5, 0
	s_mov_b32 s0, 0
	s_mov_b32 s16, 0
	s_branch .LBB6_17
.LBB6_16:
	s_mov_b32 s0, 0
	s_mov_b32 s5, 0
.LBB6_17:
	s_wait_xcnt 0x0
	v_mov_b64_e32 v[4:5], s[12:13]
	v_dual_mov_b32 v0, s1 :: v_dual_mov_b32 v1, s5
	v_dual_mov_b32 v2, s0 :: v_dual_mov_b32 v3, s16
	v_mov_b32_e32 v6, 0
	s_clause 0x1
	global_store_b128 v6, v[0:3], s[2:3]
	global_store_b64 v6, v[4:5], s[2:3] offset:16
.LBB6_18:
	s_endpgm
	.section	.rodata,"a",@progbits
	.p2align	6, 0x0
	.amdhsa_kernel _Z25classify_and_build_queuesPKiiiffPiS1_P8MoEStats
		.amdhsa_group_segment_fixed_size 0
		.amdhsa_private_segment_fixed_size 0
		.amdhsa_kernarg_size 48
		.amdhsa_user_sgpr_count 2
		.amdhsa_user_sgpr_dispatch_ptr 0
		.amdhsa_user_sgpr_queue_ptr 0
		.amdhsa_user_sgpr_kernarg_segment_ptr 1
		.amdhsa_user_sgpr_dispatch_id 0
		.amdhsa_user_sgpr_kernarg_preload_length 0
		.amdhsa_user_sgpr_kernarg_preload_offset 0
		.amdhsa_user_sgpr_private_segment_size 0
		.amdhsa_wavefront_size32 1
		.amdhsa_uses_dynamic_stack 0
		.amdhsa_enable_private_segment 0
		.amdhsa_system_sgpr_workgroup_id_x 1
		.amdhsa_system_sgpr_workgroup_id_y 0
		.amdhsa_system_sgpr_workgroup_id_z 0
		.amdhsa_system_sgpr_workgroup_info 0
		.amdhsa_system_vgpr_workitem_id 0
		.amdhsa_next_free_vgpr 7
		.amdhsa_next_free_sgpr 26
		.amdhsa_named_barrier_count 0
		.amdhsa_reserve_vcc 1
		.amdhsa_float_round_mode_32 0
		.amdhsa_float_round_mode_16_64 0
		.amdhsa_float_denorm_mode_32 3
		.amdhsa_float_denorm_mode_16_64 3
		.amdhsa_fp16_overflow 0
		.amdhsa_memory_ordered 1
		.amdhsa_forward_progress 1
		.amdhsa_inst_pref_size 7
		.amdhsa_round_robin_scheduling 0
		.amdhsa_exception_fp_ieee_invalid_op 0
		.amdhsa_exception_fp_denorm_src 0
		.amdhsa_exception_fp_ieee_div_zero 0
		.amdhsa_exception_fp_ieee_overflow 0
		.amdhsa_exception_fp_ieee_underflow 0
		.amdhsa_exception_fp_ieee_inexact 0
		.amdhsa_exception_int_div_zero 0
	.end_amdhsa_kernel
	.text
.Lfunc_end6:
	.size	_Z25classify_and_build_queuesPKiiiffPiS1_P8MoEStats, .Lfunc_end6-_Z25classify_and_build_queuesPKiiiffPiS1_P8MoEStats
                                        ; -- End function
	.set _Z25classify_and_build_queuesPKiiiffPiS1_P8MoEStats.num_vgpr, 7
	.set _Z25classify_and_build_queuesPKiiiffPiS1_P8MoEStats.num_agpr, 0
	.set _Z25classify_and_build_queuesPKiiiffPiS1_P8MoEStats.numbered_sgpr, 26
	.set _Z25classify_and_build_queuesPKiiiffPiS1_P8MoEStats.num_named_barrier, 0
	.set _Z25classify_and_build_queuesPKiiiffPiS1_P8MoEStats.private_seg_size, 0
	.set _Z25classify_and_build_queuesPKiiiffPiS1_P8MoEStats.uses_vcc, 1
	.set _Z25classify_and_build_queuesPKiiiffPiS1_P8MoEStats.uses_flat_scratch, 0
	.set _Z25classify_and_build_queuesPKiiiffPiS1_P8MoEStats.has_dyn_sized_stack, 0
	.set _Z25classify_and_build_queuesPKiiiffPiS1_P8MoEStats.has_recursion, 0
	.set _Z25classify_and_build_queuesPKiiiffPiS1_P8MoEStats.has_indirect_call, 0
	.section	.AMDGPU.csdata,"",@progbits
; Kernel info:
; codeLenInByte = 820
; TotalNumSgprs: 28
; NumVgprs: 7
; ScratchSize: 0
; MemoryBound: 0
; FloatMode: 240
; IeeeMode: 1
; LDSByteSize: 0 bytes/workgroup (compile time only)
; SGPRBlocks: 0
; VGPRBlocks: 0
; NumSGPRsForWavesPerEU: 28
; NumVGPRsForWavesPerEU: 7
; NamedBarCnt: 0
; Occupancy: 16
; WaveLimiterHint : 0
; COMPUTE_PGM_RSRC2:SCRATCH_EN: 0
; COMPUTE_PGM_RSRC2:USER_SGPR: 2
; COMPUTE_PGM_RSRC2:TRAP_HANDLER: 0
; COMPUTE_PGM_RSRC2:TGID_X_EN: 1
; COMPUTE_PGM_RSRC2:TGID_Y_EN: 0
; COMPUTE_PGM_RSRC2:TGID_Z_EN: 0
; COMPUTE_PGM_RSRC2:TIDIG_COMP_CNT: 0
	.text
	.p2alignl 7, 3214868480
	.fill 96, 4, 3214868480
	.section	.AMDGPU.gpr_maximums,"",@progbits
	.set amdgpu.max_num_vgpr, 0
	.set amdgpu.max_num_agpr, 0
	.set amdgpu.max_num_sgpr, 0
	.text
	.type	__hip_cuid_82b58a7baa3d38b7,@object ; @__hip_cuid_82b58a7baa3d38b7
	.section	.bss,"aw",@nobits
	.globl	__hip_cuid_82b58a7baa3d38b7
__hip_cuid_82b58a7baa3d38b7:
	.byte	0                               ; 0x0
	.size	__hip_cuid_82b58a7baa3d38b7, 1

	.ident	"AMD clang version 22.0.0git (https://github.com/RadeonOpenCompute/llvm-project roc-7.2.4 26084 f58b06dce1f9c15707c5f808fd002e18c2accf7e)"
	.section	".note.GNU-stack","",@progbits
	.addrsig
	.addrsig_sym __hip_cuid_82b58a7baa3d38b7
	.amdgpu_metadata
---
amdhsa.kernels:
  - .args:
      - .actual_access:  read_only
        .address_space:  global
        .offset:         0
        .size:           8
        .value_kind:     global_buffer
      - .actual_access:  read_only
        .address_space:  global
        .offset:         8
        .size:           8
        .value_kind:     global_buffer
      - .offset:         16
        .size:           4
        .value_kind:     by_value
      - .offset:         20
        .size:           4
        .value_kind:     by_value
      - .actual_access:  write_only
        .address_space:  global
        .offset:         24
        .size:           8
        .value_kind:     global_buffer
      - .actual_access:  write_only
        .address_space:  global
        .offset:         32
        .size:           8
        .value_kind:     global_buffer
      - .actual_access:  write_only
        .address_space:  global
        .offset:         40
        .size:           8
        .value_kind:     global_buffer
      - .address_space:  global
        .offset:         48
        .size:           8
        .value_kind:     global_buffer
      - .offset:         56
        .size:           4
        .value_kind:     by_value
      - .offset:         64
        .size:           4
        .value_kind:     hidden_block_count_x
      - .offset:         68
        .size:           4
        .value_kind:     hidden_block_count_y
      - .offset:         72
        .size:           4
        .value_kind:     hidden_block_count_z
      - .offset:         76
        .size:           2
        .value_kind:     hidden_group_size_x
      - .offset:         78
        .size:           2
        .value_kind:     hidden_group_size_y
      - .offset:         80
        .size:           2
        .value_kind:     hidden_group_size_z
      - .offset:         82
        .size:           2
        .value_kind:     hidden_remainder_x
      - .offset:         84
        .size:           2
        .value_kind:     hidden_remainder_y
      - .offset:         86
        .size:           2
        .value_kind:     hidden_remainder_z
      - .offset:         104
        .size:           8
        .value_kind:     hidden_global_offset_x
      - .offset:         112
        .size:           8
        .value_kind:     hidden_global_offset_y
      - .offset:         120
        .size:           8
        .value_kind:     hidden_global_offset_z
      - .offset:         128
        .size:           2
        .value_kind:     hidden_grid_dims
    .group_segment_fixed_size: 0
    .kernarg_segment_align: 8
    .kernarg_segment_size: 320
    .language:       OpenCL C
    .language_version:
      - 2
      - 0
    .max_flat_workgroup_size: 1024
    .name:           _Z23count_tokens_per_expertPKiPKfiiPiS3_PfS3_i
    .private_segment_fixed_size: 0
    .sgpr_count:     14
    .sgpr_spill_count: 0
    .symbol:         _Z23count_tokens_per_expertPKiPKfiiPiS3_PfS3_i.kd
    .uniform_work_group_size: 1
    .uses_dynamic_stack: false
    .vgpr_count:     7
    .vgpr_spill_count: 0
    .wavefront_size: 32
  - .args:
      - .address_space:  global
        .offset:         0
        .size:           8
        .value_kind:     global_buffer
      - .actual_access:  write_only
        .address_space:  global
        .offset:         8
        .size:           8
        .value_kind:     global_buffer
      - .offset:         16
        .size:           4
        .value_kind:     by_value
    .group_segment_fixed_size: 0
    .kernarg_segment_align: 8
    .kernarg_segment_size: 20
    .language:       OpenCL C
    .language_version:
      - 2
      - 0
    .max_flat_workgroup_size: 1024
    .name:           _Z29exclusive_scan_expert_offsetsPiS_i
    .private_segment_fixed_size: 0
    .sgpr_count:     16
    .sgpr_spill_count: 0
    .symbol:         _Z29exclusive_scan_expert_offsetsPiS_i.kd
    .uniform_work_group_size: 1
    .uses_dynamic_stack: false
    .vgpr_count:     18
    .vgpr_spill_count: 0
    .wavefront_size: 32
  - .args:
      - .actual_access:  read_only
        .address_space:  global
        .offset:         0
        .size:           8
        .value_kind:     global_buffer
      - .actual_access:  read_only
        .address_space:  global
        .offset:         8
        .size:           8
        .value_kind:     global_buffer
      - .actual_access:  read_only
        .address_space:  global
        .offset:         16
        .size:           8
        .value_kind:     global_buffer
      - .offset:         24
        .size:           4
        .value_kind:     by_value
      - .actual_access:  read_only
        .address_space:  global
        .offset:         32
        .size:           8
        .value_kind:     global_buffer
      - .address_space:  global
        .offset:         40
        .size:           8
        .value_kind:     global_buffer
      - .actual_access:  write_only
        .address_space:  global
        .offset:         48
        .size:           8
        .value_kind:     global_buffer
      - .actual_access:  write_only
        .address_space:  global
        .offset:         56
        .size:           8
        .value_kind:     global_buffer
      - .offset:         64
        .size:           4
        .value_kind:     hidden_block_count_x
      - .offset:         68
        .size:           4
        .value_kind:     hidden_block_count_y
      - .offset:         72
        .size:           4
        .value_kind:     hidden_block_count_z
      - .offset:         76
        .size:           2
        .value_kind:     hidden_group_size_x
      - .offset:         78
        .size:           2
        .value_kind:     hidden_group_size_y
      - .offset:         80
        .size:           2
        .value_kind:     hidden_group_size_z
      - .offset:         82
        .size:           2
        .value_kind:     hidden_remainder_x
      - .offset:         84
        .size:           2
        .value_kind:     hidden_remainder_y
      - .offset:         86
        .size:           2
        .value_kind:     hidden_remainder_z
      - .offset:         104
        .size:           8
        .value_kind:     hidden_global_offset_x
      - .offset:         112
        .size:           8
        .value_kind:     hidden_global_offset_y
      - .offset:         120
        .size:           8
        .value_kind:     hidden_global_offset_z
      - .offset:         128
        .size:           2
        .value_kind:     hidden_grid_dims
    .group_segment_fixed_size: 0
    .kernarg_segment_align: 8
    .kernarg_segment_size: 320
    .language:       OpenCL C
    .language_version:
      - 2
      - 0
    .max_flat_workgroup_size: 1024
    .name:           _Z24compact_by_expert_kernelPKiS0_PKfiS0_PiS3_Pf
    .private_segment_fixed_size: 0
    .sgpr_count:     16
    .sgpr_spill_count: 0
    .symbol:         _Z24compact_by_expert_kernelPKiS0_PKfiS0_PiS3_Pf.kd
    .uniform_work_group_size: 1
    .uses_dynamic_stack: false
    .vgpr_count:     6
    .vgpr_spill_count: 0
    .wavefront_size: 32
  - .args:
      - .actual_access:  read_only
        .address_space:  global
        .offset:         0
        .size:           8
        .value_kind:     global_buffer
      - .actual_access:  read_only
        .address_space:  global
        .offset:         8
        .size:           8
        .value_kind:     global_buffer
      - .actual_access:  write_only
        .address_space:  global
        .offset:         16
        .size:           8
        .value_kind:     global_buffer
      - .offset:         24
        .size:           4
        .value_kind:     by_value
      - .offset:         28
        .size:           4
        .value_kind:     by_value
      - .offset:         32
        .size:           4
        .value_kind:     hidden_block_count_x
      - .offset:         36
        .size:           4
        .value_kind:     hidden_block_count_y
      - .offset:         40
        .size:           4
        .value_kind:     hidden_block_count_z
      - .offset:         44
        .size:           2
        .value_kind:     hidden_group_size_x
      - .offset:         46
        .size:           2
        .value_kind:     hidden_group_size_y
      - .offset:         48
        .size:           2
        .value_kind:     hidden_group_size_z
      - .offset:         50
        .size:           2
        .value_kind:     hidden_remainder_x
      - .offset:         52
        .size:           2
        .value_kind:     hidden_remainder_y
      - .offset:         54
        .size:           2
        .value_kind:     hidden_remainder_z
      - .offset:         72
        .size:           8
        .value_kind:     hidden_global_offset_x
      - .offset:         80
        .size:           8
        .value_kind:     hidden_global_offset_y
      - .offset:         88
        .size:           8
        .value_kind:     hidden_global_offset_z
      - .offset:         96
        .size:           2
        .value_kind:     hidden_grid_dims
    .group_segment_fixed_size: 0
    .kernarg_segment_align: 8
    .kernarg_segment_size: 288
    .language:       OpenCL C
    .language_version:
      - 2
      - 0
    .max_flat_workgroup_size: 1024
    .name:           _Z23gather_rows_vec4_kernelPKfPKiPfii
    .private_segment_fixed_size: 0
    .sgpr_count:     14
    .sgpr_spill_count: 0
    .symbol:         _Z23gather_rows_vec4_kernelPKfPKiPfii.kd
    .uniform_work_group_size: 1
    .uses_dynamic_stack: false
    .vgpr_count:     6
    .vgpr_spill_count: 0
    .wavefront_size: 32
  - .args:
      - .actual_access:  read_only
        .address_space:  global
        .offset:         0
        .size:           8
        .value_kind:     global_buffer
      - .actual_access:  read_only
        .address_space:  global
        .offset:         8
        .size:           8
        .value_kind:     global_buffer
      - .actual_access:  write_only
        .address_space:  global
        .offset:         16
        .size:           8
        .value_kind:     global_buffer
      - .offset:         24
        .size:           4
        .value_kind:     by_value
      - .offset:         28
        .size:           4
        .value_kind:     by_value
      - .offset:         32
        .size:           4
        .value_kind:     hidden_block_count_x
      - .offset:         36
        .size:           4
        .value_kind:     hidden_block_count_y
      - .offset:         40
        .size:           4
        .value_kind:     hidden_block_count_z
      - .offset:         44
        .size:           2
        .value_kind:     hidden_group_size_x
      - .offset:         46
        .size:           2
        .value_kind:     hidden_group_size_y
      - .offset:         48
        .size:           2
        .value_kind:     hidden_group_size_z
      - .offset:         50
        .size:           2
        .value_kind:     hidden_remainder_x
      - .offset:         52
        .size:           2
        .value_kind:     hidden_remainder_y
      - .offset:         54
        .size:           2
        .value_kind:     hidden_remainder_z
      - .offset:         72
        .size:           8
        .value_kind:     hidden_global_offset_x
      - .offset:         80
        .size:           8
        .value_kind:     hidden_global_offset_y
      - .offset:         88
        .size:           8
        .value_kind:     hidden_global_offset_z
      - .offset:         96
        .size:           2
        .value_kind:     hidden_grid_dims
    .group_segment_fixed_size: 0
    .kernarg_segment_align: 8
    .kernarg_segment_size: 288
    .language:       OpenCL C
    .language_version:
      - 2
      - 0
    .max_flat_workgroup_size: 1024
    .name:           _Z18gather_rows_kernelPKfPKiPfii
    .private_segment_fixed_size: 0
    .sgpr_count:     14
    .sgpr_spill_count: 0
    .symbol:         _Z18gather_rows_kernelPKfPKiPfii.kd
    .uniform_work_group_size: 1
    .uses_dynamic_stack: false
    .vgpr_count:     2
    .vgpr_spill_count: 0
    .wavefront_size: 32
  - .args:
      - .actual_access:  read_only
        .address_space:  global
        .offset:         0
        .size:           8
        .value_kind:     global_buffer
      - .actual_access:  write_only
        .address_space:  global
        .offset:         8
        .size:           8
        .value_kind:     global_buffer
      - .actual_access:  write_only
        .address_space:  global
        .offset:         16
        .size:           8
        .value_kind:     global_buffer
      - .offset:         24
        .size:           4
        .value_kind:     by_value
    .group_segment_fixed_size: 0
    .kernarg_segment_align: 8
    .kernarg_segment_size: 28
    .language:       OpenCL C
    .language_version:
      - 2
      - 0
    .max_flat_workgroup_size: 1024
    .name:           _Z23build_expert_work_queuePKiPiP4Int2i
    .private_segment_fixed_size: 0
    .sgpr_count:     16
    .sgpr_spill_count: 0
    .symbol:         _Z23build_expert_work_queuePKiPiP4Int2i.kd
    .uniform_work_group_size: 1
    .uses_dynamic_stack: false
    .vgpr_count:     5
    .vgpr_spill_count: 0
    .wavefront_size: 32
  - .args:
      - .actual_access:  read_only
        .address_space:  global
        .offset:         0
        .size:           8
        .value_kind:     global_buffer
      - .offset:         8
        .size:           4
        .value_kind:     by_value
      - .offset:         12
        .size:           4
        .value_kind:     by_value
      - .offset:         16
        .size:           4
        .value_kind:     by_value
      - .offset:         20
        .size:           4
        .value_kind:     by_value
      - .actual_access:  write_only
        .address_space:  global
        .offset:         24
        .size:           8
        .value_kind:     global_buffer
      - .actual_access:  write_only
        .address_space:  global
        .offset:         32
        .size:           8
        .value_kind:     global_buffer
      - .actual_access:  write_only
        .address_space:  global
        .offset:         40
        .size:           8
        .value_kind:     global_buffer
    .group_segment_fixed_size: 0
    .kernarg_segment_align: 8
    .kernarg_segment_size: 48
    .language:       OpenCL C
    .language_version:
      - 2
      - 0
    .max_flat_workgroup_size: 1024
    .name:           _Z25classify_and_build_queuesPKiiiffPiS1_P8MoEStats
    .private_segment_fixed_size: 0
    .sgpr_count:     28
    .sgpr_spill_count: 0
    .symbol:         _Z25classify_and_build_queuesPKiiiffPiS1_P8MoEStats.kd
    .uniform_work_group_size: 1
    .uses_dynamic_stack: false
    .vgpr_count:     7
    .vgpr_spill_count: 0
    .wavefront_size: 32
amdhsa.target:   amdgcn-amd-amdhsa--gfx1250
amdhsa.version:
  - 1
  - 2
...

	.end_amdgpu_metadata
